;; amdgpu-corpus repo=ROCm/rocFFT kind=compiled arch=gfx1030 opt=O3
	.text
	.amdgcn_target "amdgcn-amd-amdhsa--gfx1030"
	.amdhsa_code_object_version 6
	.protected	bluestein_single_back_len280_dim1_dp_op_CI_CI ; -- Begin function bluestein_single_back_len280_dim1_dp_op_CI_CI
	.globl	bluestein_single_back_len280_dim1_dp_op_CI_CI
	.p2align	8
	.type	bluestein_single_back_len280_dim1_dp_op_CI_CI,@function
bluestein_single_back_len280_dim1_dp_op_CI_CI: ; @bluestein_single_back_len280_dim1_dp_op_CI_CI
; %bb.0:
	s_load_dwordx4 s[0:3], s[4:5], 0x28
	v_mul_u32_u24_e32 v1, 0x493, v0
	v_mov_b32_e32 v73, 0
	v_lshrrev_b32_e32 v1, 16, v1
	v_add_nc_u32_e32 v72, s6, v1
	s_waitcnt lgkmcnt(0)
	v_cmp_gt_u64_e32 vcc_lo, s[0:1], v[72:73]
	s_and_saveexec_b32 s0, vcc_lo
	s_cbranch_execz .LBB0_23
; %bb.1:
	s_clause 0x1
	s_load_dwordx2 s[14:15], s[4:5], 0x0
	s_load_dwordx2 s[12:13], s[4:5], 0x38
	v_mul_lo_u16 v1, v1, 56
	v_sub_nc_u16 v0, v0, v1
	v_and_b32_e32 v82, 0xffff, v0
	v_cmp_gt_u16_e32 vcc_lo, 35, v0
	v_lshlrev_b32_e32 v81, 4, v82
	s_and_saveexec_b32 s1, vcc_lo
	s_cbranch_execz .LBB0_3
; %bb.2:
	s_load_dwordx2 s[6:7], s[4:5], 0x18
	s_waitcnt lgkmcnt(0)
	s_load_dwordx4 s[8:11], s[6:7], 0x0
	s_waitcnt lgkmcnt(0)
	v_mad_u64_u32 v[8:9], null, s10, v72, 0
	v_mad_u64_u32 v[16:17], null, s8, v82, 0
	s_mul_i32 s6, s9, 0x230
	s_mul_hi_u32 s7, s8, 0x230
	s_add_i32 s7, s7, s6
	v_mov_b32_e32 v0, v9
	v_mov_b32_e32 v1, v17
	v_mad_u64_u32 v[2:3], null, s11, v72, v[0:1]
	v_mad_u64_u32 v[10:11], null, s9, v82, v[1:2]
	v_mov_b32_e32 v9, v2
	s_clause 0x1
	global_load_dwordx4 v[0:3], v81, s[14:15]
	global_load_dwordx4 v[4:7], v81, s[14:15] offset:560
	v_lshlrev_b64 v[18:19], 4, v[8:9]
	v_mov_b32_e32 v17, v10
	s_clause 0x1
	global_load_dwordx4 v[8:11], v81, s[14:15] offset:1120
	global_load_dwordx4 v[12:15], v81, s[14:15] offset:1680
	v_add_co_u32 v18, s0, s2, v18
	v_lshlrev_b64 v[16:17], 4, v[16:17]
	v_add_co_ci_u32_e64 v19, s0, s3, v19, s0
	s_mul_i32 s2, s8, 0x230
	v_add_co_u32 v24, s0, v18, v16
	v_add_co_ci_u32_e64 v25, s0, v19, v17, s0
	v_add_co_u32 v28, s0, v24, s2
	v_add_co_ci_u32_e64 v29, s0, s7, v25, s0
	v_add_co_u32 v16, s0, s14, v81
	v_add_co_ci_u32_e64 v17, null, s15, 0, s0
	v_add_co_u32 v32, s0, v28, s2
	v_add_co_ci_u32_e64 v33, s0, s7, v29, s0
	v_add_co_u32 v56, s0, 0x800, v16
	v_add_co_ci_u32_e64 v57, s0, 0, v17, s0
	;; [unrolled: 2-line block ×3, first 2 shown]
	s_clause 0x1
	global_load_dwordx4 v[16:19], v[56:57], off offset:192
	global_load_dwordx4 v[20:23], v[56:57], off offset:752
	v_add_co_u32 v40, s0, v36, s2
	v_add_co_ci_u32_e64 v41, s0, s7, v37, s0
	s_clause 0x1
	global_load_dwordx4 v[24:27], v[24:25], off
	global_load_dwordx4 v[28:31], v[28:29], off
	v_add_co_u32 v44, s0, v40, s2
	v_add_co_ci_u32_e64 v45, s0, s7, v41, s0
	s_clause 0x1
	global_load_dwordx4 v[32:35], v[32:33], off
	global_load_dwordx4 v[36:39], v[36:37], off
	v_add_co_u32 v48, s0, v44, s2
	v_add_co_ci_u32_e64 v49, s0, s7, v45, s0
	global_load_dwordx4 v[40:43], v[40:41], off
	v_add_co_u32 v60, s0, v48, s2
	v_add_co_ci_u32_e64 v61, s0, s7, v49, s0
	global_load_dwordx4 v[44:47], v[44:45], off
	global_load_dwordx4 v[48:51], v[48:49], off
	s_clause 0x1
	global_load_dwordx4 v[52:55], v[56:57], off offset:1312
	global_load_dwordx4 v[56:59], v[56:57], off offset:1872
	global_load_dwordx4 v[60:63], v[60:61], off
	s_waitcnt vmcnt(9)
	v_mul_f64 v[64:65], v[26:27], v[2:3]
	v_mul_f64 v[2:3], v[24:25], v[2:3]
	s_waitcnt vmcnt(8)
	v_mul_f64 v[66:67], v[30:31], v[6:7]
	v_mul_f64 v[6:7], v[28:29], v[6:7]
	;; [unrolled: 3-line block ×8, first 2 shown]
	v_fma_f64 v[22:23], v[24:25], v[0:1], v[64:65]
	v_fma_f64 v[24:25], v[26:27], v[0:1], -v[2:3]
	v_fma_f64 v[0:1], v[28:29], v[4:5], v[66:67]
	v_fma_f64 v[2:3], v[30:31], v[4:5], -v[6:7]
	;; [unrolled: 2-line block ×8, first 2 shown]
	ds_write_b128 v81, v[22:25]
	ds_write_b128 v81, v[0:3] offset:560
	ds_write_b128 v81, v[4:7] offset:1120
	;; [unrolled: 1-line block ×7, first 2 shown]
.LBB0_3:
	s_or_b32 exec_lo, exec_lo, s1
	s_waitcnt lgkmcnt(0)
	s_barrier
	buffer_gl0_inv
                                        ; implicit-def: $vgpr0_vgpr1
                                        ; implicit-def: $vgpr8_vgpr9
                                        ; implicit-def: $vgpr16_vgpr17
                                        ; implicit-def: $vgpr28_vgpr29
                                        ; implicit-def: $vgpr24_vgpr25
                                        ; implicit-def: $vgpr20_vgpr21
                                        ; implicit-def: $vgpr12_vgpr13
                                        ; implicit-def: $vgpr4_vgpr5
	s_and_saveexec_b32 s0, vcc_lo
	s_cbranch_execz .LBB0_5
; %bb.4:
	ds_read_b128 v[0:3], v81
	ds_read_b128 v[4:7], v81 offset:560
	ds_read_b128 v[8:11], v81 offset:1120
	;; [unrolled: 1-line block ×7, first 2 shown]
.LBB0_5:
	s_or_b32 exec_lo, exec_lo, s0
	s_waitcnt lgkmcnt(3)
	v_add_f64 v[20:21], v[0:1], -v[20:21]
	v_add_f64 v[22:23], v[2:3], -v[22:23]
	s_waitcnt lgkmcnt(1)
	v_add_f64 v[24:25], v[8:9], -v[24:25]
	v_add_f64 v[26:27], v[10:11], -v[26:27]
	;; [unrolled: 1-line block ×4, first 2 shown]
	s_waitcnt lgkmcnt(0)
	v_add_f64 v[28:29], v[12:13], -v[28:29]
	v_add_f64 v[30:31], v[14:15], -v[30:31]
	s_mov_b32 s0, 0x667f3bcd
	s_mov_b32 s1, 0xbfe6a09e
	;; [unrolled: 1-line block ×4, first 2 shown]
	v_lshlrev_b16 v84, 3, v82
	s_barrier
	buffer_gl0_inv
	v_fma_f64 v[0:1], v[0:1], 2.0, -v[20:21]
	v_fma_f64 v[2:3], v[2:3], 2.0, -v[22:23]
	;; [unrolled: 1-line block ×6, first 2 shown]
	v_add_f64 v[26:27], v[20:21], -v[26:27]
	v_add_f64 v[38:39], v[24:25], v[22:23]
	v_fma_f64 v[12:13], v[12:13], 2.0, -v[28:29]
	v_fma_f64 v[14:15], v[14:15], 2.0, -v[30:31]
	v_add_f64 v[24:25], v[16:17], -v[30:31]
	v_add_f64 v[28:29], v[28:29], v[18:19]
	v_add_f64 v[8:9], v[0:1], -v[8:9]
	v_add_f64 v[10:11], v[2:3], -v[10:11]
	v_fma_f64 v[20:21], v[20:21], 2.0, -v[26:27]
	v_fma_f64 v[22:23], v[22:23], 2.0, -v[38:39]
	v_add_f64 v[12:13], v[4:5], -v[12:13]
	v_add_f64 v[14:15], v[6:7], -v[14:15]
	v_fma_f64 v[16:17], v[16:17], 2.0, -v[24:25]
	v_fma_f64 v[18:19], v[18:19], 2.0, -v[28:29]
	v_fma_f64 v[30:31], v[24:25], s[2:3], v[26:27]
	v_fma_f64 v[36:37], v[28:29], s[2:3], v[38:39]
	v_fma_f64 v[0:1], v[0:1], 2.0, -v[8:9]
	v_fma_f64 v[2:3], v[2:3], 2.0, -v[10:11]
	;; [unrolled: 1-line block ×4, first 2 shown]
	v_fma_f64 v[32:33], v[16:17], s[0:1], v[20:21]
	v_fma_f64 v[34:35], v[18:19], s[0:1], v[22:23]
	v_add_f64 v[52:53], v[8:9], -v[14:15]
	v_add_f64 v[54:55], v[10:11], v[12:13]
	v_fma_f64 v[40:41], v[28:29], s[0:1], v[30:31]
	v_fma_f64 v[42:43], v[24:25], s[2:3], v[36:37]
	v_add_f64 v[44:45], v[0:1], -v[4:5]
	v_add_f64 v[46:47], v[2:3], -v[6:7]
	v_fma_f64 v[48:49], v[18:19], s[0:1], v[32:33]
	v_fma_f64 v[50:51], v[16:17], s[2:3], v[34:35]
	v_fma_f64 v[32:33], v[8:9], 2.0, -v[52:53]
	v_fma_f64 v[34:35], v[10:11], 2.0, -v[54:55]
	v_fma_f64 v[36:37], v[26:27], 2.0, -v[40:41]
	v_fma_f64 v[38:39], v[38:39], 2.0, -v[42:43]
	s_load_dwordx2 s[2:3], s[4:5], 0x8
	v_fma_f64 v[24:25], v[0:1], 2.0, -v[44:45]
	v_fma_f64 v[26:27], v[2:3], 2.0, -v[46:47]
	;; [unrolled: 1-line block ×4, first 2 shown]
	s_and_saveexec_b32 s0, vcc_lo
	s_cbranch_execz .LBB0_7
; %bb.6:
	v_mov_b32_e32 v0, 4
	v_lshlrev_b32_sdwa v0, v0, v84 dst_sel:DWORD dst_unused:UNUSED_PAD src0_sel:DWORD src1_sel:WORD_0
	ds_write_b128 v0, v[24:27]
	ds_write_b128 v0, v[28:31] offset:16
	ds_write_b128 v0, v[32:35] offset:32
	;; [unrolled: 1-line block ×7, first 2 shown]
.LBB0_7:
	s_or_b32 exec_lo, exec_lo, s0
	s_load_dwordx2 s[4:5], s[4:5], 0x20
	v_cmp_gt_u16_e64 s0, 40, v82
	s_waitcnt lgkmcnt(0)
	s_barrier
	buffer_gl0_inv
	s_and_saveexec_b32 s1, s0
	s_cbranch_execz .LBB0_9
; %bb.8:
	ds_read_b128 v[24:27], v81
	ds_read_b128 v[28:31], v81 offset:640
	ds_read_b128 v[32:35], v81 offset:1280
	;; [unrolled: 1-line block ×6, first 2 shown]
.LBB0_9:
	s_or_b32 exec_lo, exec_lo, s1
	v_and_b32_e32 v83, 7, v82
	s_mov_b32 s6, 0xe976ee23
	s_mov_b32 s7, 0xbfe11646
	;; [unrolled: 1-line block ×4, first 2 shown]
	v_mul_u32_u24_e32 v0, 6, v83
	s_mov_b32 s9, 0x3fe948f6
	s_mov_b32 s11, 0x3febfeb5
	;; [unrolled: 1-line block ×4, first 2 shown]
	v_lshlrev_b32_e32 v8, 4, v0
	s_clause 0x5
	global_load_dwordx4 v[4:7], v8, s[2:3]
	global_load_dwordx4 v[0:3], v8, s[2:3] offset:16
	global_load_dwordx4 v[20:23], v8, s[2:3] offset:80
	;; [unrolled: 1-line block ×5, first 2 shown]
	s_waitcnt vmcnt(0) lgkmcnt(0)
	s_barrier
	buffer_gl0_inv
	v_mul_f64 v[56:57], v[30:31], v[6:7]
	v_mul_f64 v[58:59], v[28:29], v[6:7]
	;; [unrolled: 1-line block ×12, first 2 shown]
	v_fma_f64 v[28:29], v[28:29], v[4:5], -v[56:57]
	v_fma_f64 v[30:31], v[30:31], v[4:5], v[58:59]
	v_fma_f64 v[32:33], v[32:33], v[0:1], -v[60:61]
	v_fma_f64 v[34:35], v[34:35], v[0:1], v[62:63]
	v_fma_f64 v[52:53], v[52:53], v[20:21], -v[64:65]
	v_fma_f64 v[48:49], v[48:49], v[16:17], -v[66:67]
	v_fma_f64 v[54:55], v[54:55], v[20:21], v[68:69]
	v_fma_f64 v[50:51], v[50:51], v[16:17], v[70:71]
	v_fma_f64 v[36:37], v[36:37], v[12:13], -v[73:74]
	v_fma_f64 v[38:39], v[38:39], v[12:13], v[75:76]
	v_fma_f64 v[44:45], v[44:45], v[8:9], -v[77:78]
	v_fma_f64 v[46:47], v[46:47], v[8:9], v[79:80]
	v_add_f64 v[56:57], v[28:29], v[52:53]
	v_add_f64 v[58:59], v[32:33], v[48:49]
	v_add_f64 v[60:61], v[30:31], v[54:55]
	v_add_f64 v[62:63], v[34:35], v[50:51]
	v_add_f64 v[48:49], v[32:33], -v[48:49]
	v_add_f64 v[34:35], v[34:35], -v[50:51]
	;; [unrolled: 1-line block ×4, first 2 shown]
	v_add_f64 v[44:45], v[36:37], v[44:45]
	v_add_f64 v[46:47], v[38:39], v[46:47]
	v_add_f64 v[66:67], v[28:29], -v[52:53]
	v_add_f64 v[68:69], v[30:31], -v[54:55]
	v_add_f64 v[28:29], v[58:59], v[56:57]
	v_add_f64 v[32:33], v[58:59], -v[56:57]
	v_add_f64 v[30:31], v[62:63], v[60:61]
	v_add_f64 v[36:37], v[64:65], -v[48:49]
	v_add_f64 v[38:39], v[50:51], -v[34:35]
	;; [unrolled: 1-line block ×7, first 2 shown]
	v_add_f64 v[79:80], v[50:51], v[34:35]
	v_add_f64 v[50:51], v[68:69], -v[50:51]
	v_add_f64 v[48:49], v[64:65], v[48:49]
	v_add_f64 v[75:76], v[44:45], v[28:29]
	;; [unrolled: 1-line block ×3, first 2 shown]
	v_mul_f64 v[30:31], v[36:37], s[6:7]
	v_mul_f64 v[28:29], v[38:39], s[6:7]
	v_add_f64 v[36:37], v[62:63], -v[60:61]
	v_mul_f64 v[60:61], v[52:53], s[8:9]
	v_mul_f64 v[85:86], v[54:55], s[8:9]
	;; [unrolled: 1-line block ×4, first 2 shown]
	v_add_f64 v[52:53], v[44:45], -v[58:59]
	v_add_f64 v[54:55], v[46:47], -v[62:63]
	s_mov_b32 s6, 0x36b3c0b5
	s_mov_b32 s10, 0xaaaaaaaa
	;; [unrolled: 1-line block ×6, first 2 shown]
	v_add_f64 v[64:65], v[48:49], v[66:67]
	v_add_f64 v[66:67], v[79:80], v[68:69]
	;; [unrolled: 1-line block ×4, first 2 shown]
	v_fma_f64 v[44:45], v[56:57], s[16:17], v[30:31]
	v_fma_f64 v[46:47], v[50:51], s[16:17], v[28:29]
	s_mov_b32 s17, 0xbfd5d0dc
	v_fma_f64 v[48:49], v[32:33], s[8:9], -v[60:61]
	v_fma_f64 v[70:71], v[36:37], s[8:9], -v[85:86]
	;; [unrolled: 1-line block ×4, first 2 shown]
	v_fma_f64 v[60:61], v[52:53], s[6:7], v[60:61]
	v_fma_f64 v[85:86], v[54:55], s[6:7], v[85:86]
	;; [unrolled: 1-line block ×4, first 2 shown]
	s_mov_b32 s10, 0x37c3f68c
	s_mov_b32 s11, 0x3fdc38aa
	v_fma_f64 v[58:59], v[64:65], s[10:11], v[44:45]
	v_fma_f64 v[56:57], v[66:67], s[10:11], v[46:47]
	v_fma_f64 v[75:76], v[64:65], s[10:11], v[62:63]
	v_fma_f64 v[62:63], v[66:67], s[10:11], v[50:51]
	v_add_f64 v[73:74], v[48:49], v[68:69]
	v_add_f64 v[60:61], v[60:61], v[68:69]
	;; [unrolled: 1-line block ×4, first 2 shown]
	v_lshrrev_b32_e32 v85, 3, v82
	v_add_f64 v[44:45], v[73:74], -v[62:63]
	v_add_f64 v[48:49], v[60:61], -v[56:57]
	v_add_f64 v[46:47], v[75:76], v[79:80]
	v_add_f64 v[50:51], v[58:59], v[70:71]
	s_and_saveexec_b32 s1, s0
	s_cbranch_execz .LBB0_11
; %bb.10:
	s_mov_b32 s9, 0x3fe77f67
	v_mul_f64 v[54:55], v[54:55], s[6:7]
	v_mul_f64 v[36:37], v[36:37], s[8:9]
	;; [unrolled: 1-line block ×6, first 2 shown]
	v_add_f64 v[30:31], v[38:39], -v[30:31]
	v_add_f64 v[28:29], v[34:35], -v[28:29]
	;; [unrolled: 1-line block ×5, first 2 shown]
	v_add_f64 v[52:53], v[64:65], v[30:31]
	v_add_f64 v[64:65], v[66:67], v[28:29]
	v_add_f64 v[30:31], v[79:80], -v[75:76]
	v_add_f64 v[28:29], v[62:63], v[73:74]
	v_add_f64 v[36:37], v[36:37], v[77:78]
	;; [unrolled: 1-line block ×4, first 2 shown]
	v_mul_u32_u24_e32 v56, 56, v85
	v_or_b32_e32 v56, v56, v83
	v_lshlrev_b32_e32 v56, 4, v56
	v_add_f64 v[38:39], v[36:37], -v[52:53]
	v_add_f64 v[54:55], v[52:53], v[36:37]
	v_add_f64 v[52:53], v[66:67], -v[64:65]
	v_add_f64 v[36:37], v[64:65], v[66:67]
	ds_write_b128 v56, v[24:27]
	ds_write_b128 v56, v[44:47] offset:640
	ds_write_b128 v56, v[32:35] offset:128
	;; [unrolled: 1-line block ×6, first 2 shown]
.LBB0_11:
	s_or_b32 exec_lo, exec_lo, s1
	v_lshlrev_b32_e32 v24, 6, v82
	s_load_dwordx4 s[4:7], s[4:5], 0x0
	s_waitcnt lgkmcnt(0)
	s_barrier
	buffer_gl0_inv
	s_clause 0x3
	global_load_dwordx4 v[36:39], v24, s[2:3] offset:768
	global_load_dwordx4 v[32:35], v24, s[2:3] offset:784
	;; [unrolled: 1-line block ×4, first 2 shown]
	ds_read_b128 v[52:55], v81 offset:896
	ds_read_b128 v[56:59], v81 offset:1792
	;; [unrolled: 1-line block ×4, first 2 shown]
	s_mov_b32 s2, 0x134454ff
	s_mov_b32 s3, 0x3fee6f0e
	;; [unrolled: 1-line block ×4, first 2 shown]
	s_waitcnt vmcnt(3) lgkmcnt(3)
	v_mul_f64 v[68:69], v[54:55], v[38:39]
	s_waitcnt vmcnt(2) lgkmcnt(2)
	v_mul_f64 v[70:71], v[58:59], v[34:35]
	;; [unrolled: 2-line block ×3, first 2 shown]
	v_mul_f64 v[75:76], v[52:53], v[38:39]
	s_waitcnt vmcnt(0) lgkmcnt(0)
	v_mul_f64 v[77:78], v[66:67], v[26:27]
	v_mul_f64 v[79:80], v[56:57], v[34:35]
	;; [unrolled: 1-line block ×4, first 2 shown]
	v_fma_f64 v[68:69], v[52:53], v[36:37], -v[68:69]
	v_fma_f64 v[56:57], v[56:57], v[32:33], -v[70:71]
	v_fma_f64 v[60:61], v[60:61], v[28:29], -v[73:74]
	v_fma_f64 v[70:71], v[54:55], v[36:37], v[75:76]
	v_fma_f64 v[64:65], v[64:65], v[24:25], -v[77:78]
	v_fma_f64 v[58:59], v[58:59], v[32:33], v[79:80]
	v_fma_f64 v[62:63], v[62:63], v[28:29], v[86:87]
	v_fma_f64 v[66:67], v[66:67], v[24:25], v[88:89]
	ds_read_b128 v[52:55], v81
	v_add_f64 v[73:74], v[56:57], v[60:61]
	v_add_f64 v[75:76], v[68:69], v[64:65]
	v_add_f64 v[94:95], v[68:69], -v[64:65]
	v_add_f64 v[77:78], v[58:59], v[62:63]
	v_add_f64 v[79:80], v[70:71], v[66:67]
	s_waitcnt lgkmcnt(0)
	v_add_f64 v[86:87], v[52:53], v[68:69]
	v_add_f64 v[88:89], v[70:71], -v[66:67]
	v_add_f64 v[90:91], v[58:59], -v[62:63]
	v_add_f64 v[92:93], v[54:55], v[70:71]
	v_add_f64 v[96:97], v[64:65], -v[60:61]
	v_add_f64 v[98:99], v[60:61], -v[64:65]
	;; [unrolled: 1-line block ×6, first 2 shown]
	v_fma_f64 v[73:74], v[73:74], -0.5, v[52:53]
	v_fma_f64 v[52:53], v[75:76], -0.5, v[52:53]
	v_add_f64 v[75:76], v[56:57], -v[60:61]
	v_fma_f64 v[77:78], v[77:78], -0.5, v[54:55]
	v_fma_f64 v[54:55], v[79:80], -0.5, v[54:55]
	v_add_f64 v[79:80], v[68:69], -v[56:57]
	v_add_f64 v[68:69], v[56:57], -v[68:69]
	v_add_f64 v[56:57], v[86:87], v[56:57]
	v_add_f64 v[58:59], v[92:93], v[58:59]
	;; [unrolled: 1-line block ×3, first 2 shown]
	v_fma_f64 v[86:87], v[88:89], s[2:3], v[73:74]
	v_fma_f64 v[73:74], v[88:89], s[8:9], v[73:74]
	;; [unrolled: 1-line block ×8, first 2 shown]
	s_mov_b32 s2, 0x4755a5e
	s_mov_b32 s3, 0x3fe2cf23
	;; [unrolled: 1-line block ×4, first 2 shown]
	v_add_f64 v[79:80], v[79:80], v[96:97]
	v_add_f64 v[96:97], v[68:69], v[98:99]
	;; [unrolled: 1-line block ×5, first 2 shown]
	v_fma_f64 v[60:61], v[90:91], s[2:3], v[86:87]
	v_fma_f64 v[62:63], v[90:91], s[8:9], v[73:74]
	;; [unrolled: 1-line block ×8, first 2 shown]
	s_mov_b32 s2, 0x372fe950
	s_mov_b32 s3, 0x3fd3c6ef
	v_add_f64 v[52:53], v[56:57], v[64:65]
	v_add_f64 v[54:55], v[58:59], v[66:67]
	v_fma_f64 v[56:57], v[79:80], s[2:3], v[60:61]
	v_fma_f64 v[68:69], v[79:80], s[2:3], v[62:63]
	;; [unrolled: 1-line block ×8, first 2 shown]
	ds_write_b128 v81, v[52:55]
	ds_write_b128 v81, v[56:59] offset:896
	ds_write_b128 v81, v[64:67] offset:1792
	;; [unrolled: 1-line block ×4, first 2 shown]
	s_waitcnt lgkmcnt(0)
	s_barrier
	buffer_gl0_inv
	s_and_saveexec_b32 s2, vcc_lo
	s_cbranch_execz .LBB0_13
; %bb.12:
	v_add_co_u32 v98, s1, s14, v81
	v_add_co_ci_u32_e64 v99, null, s15, 0, s1
	v_add_co_u32 v73, s1, 0x1000, v98
	v_add_co_ci_u32_e64 v74, s1, 0, v99, s1
	v_add_co_u32 v90, s1, 0x1180, v98
	v_add_co_ci_u32_e64 v91, s1, 0, v99, s1
	v_add_co_u32 v102, s1, 0x1800, v98
	global_load_dwordx4 v[73:76], v[73:74], off offset:384
	v_add_co_ci_u32_e64 v103, s1, 0, v99, s1
	v_add_co_u32 v106, s1, 0x2000, v98
	s_clause 0x3
	global_load_dwordx4 v[77:80], v[90:91], off offset:560
	global_load_dwordx4 v[86:89], v[90:91], off offset:1120
	;; [unrolled: 1-line block ×4, first 2 shown]
	v_add_co_ci_u32_e64 v107, s1, 0, v99, s1
	s_clause 0x2
	global_load_dwordx4 v[98:101], v[102:103], off offset:1136
	global_load_dwordx4 v[102:105], v[102:103], off offset:1696
	;; [unrolled: 1-line block ×3, first 2 shown]
	ds_read_b128 v[110:113], v81
	ds_read_b128 v[114:117], v81 offset:560
	ds_read_b128 v[118:121], v81 offset:1120
	;; [unrolled: 1-line block ×7, first 2 shown]
	s_waitcnt vmcnt(7) lgkmcnt(7)
	v_mul_f64 v[142:143], v[112:113], v[75:76]
	v_mul_f64 v[75:76], v[110:111], v[75:76]
	s_waitcnt vmcnt(6) lgkmcnt(6)
	v_mul_f64 v[144:145], v[116:117], v[79:80]
	v_mul_f64 v[79:80], v[114:115], v[79:80]
	;; [unrolled: 3-line block ×8, first 2 shown]
	v_fma_f64 v[108:109], v[110:111], v[73:74], -v[142:143]
	v_fma_f64 v[110:111], v[112:113], v[73:74], v[75:76]
	v_fma_f64 v[73:74], v[114:115], v[77:78], -v[144:145]
	v_fma_f64 v[75:76], v[116:117], v[77:78], v[79:80]
	;; [unrolled: 2-line block ×8, first 2 shown]
	ds_write_b128 v81, v[108:111]
	ds_write_b128 v81, v[73:76] offset:560
	ds_write_b128 v81, v[77:80] offset:1120
	;; [unrolled: 1-line block ×7, first 2 shown]
.LBB0_13:
	s_or_b32 exec_lo, exec_lo, s2
	s_waitcnt lgkmcnt(0)
	s_barrier
	buffer_gl0_inv
	s_and_saveexec_b32 s1, vcc_lo
	s_cbranch_execz .LBB0_15
; %bb.14:
	ds_read_b128 v[52:55], v81
	ds_read_b128 v[56:59], v81 offset:560
	ds_read_b128 v[64:67], v81 offset:1120
	;; [unrolled: 1-line block ×7, first 2 shown]
.LBB0_15:
	s_or_b32 exec_lo, exec_lo, s1
	s_waitcnt lgkmcnt(3)
	v_add_f64 v[68:69], v[52:53], -v[68:69]
	v_add_f64 v[70:71], v[54:55], -v[70:71]
	s_waitcnt lgkmcnt(1)
	v_add_f64 v[48:49], v[64:65], -v[48:49]
	v_add_f64 v[50:51], v[66:67], -v[50:51]
	;; [unrolled: 1-line block ×4, first 2 shown]
	s_waitcnt lgkmcnt(0)
	v_add_f64 v[40:41], v[60:61], -v[40:41]
	v_add_f64 v[42:43], v[62:63], -v[42:43]
	s_mov_b32 s2, 0x667f3bcd
	s_mov_b32 s3, 0xbfe6a09e
	;; [unrolled: 1-line block ×4, first 2 shown]
	s_barrier
	buffer_gl0_inv
	v_fma_f64 v[52:53], v[52:53], 2.0, -v[68:69]
	v_fma_f64 v[54:55], v[54:55], 2.0, -v[70:71]
	;; [unrolled: 1-line block ×6, first 2 shown]
	v_add_f64 v[73:74], v[50:51], v[68:69]
	v_add_f64 v[75:76], v[70:71], -v[48:49]
	v_fma_f64 v[48:49], v[60:61], 2.0, -v[40:41]
	v_fma_f64 v[50:51], v[62:63], 2.0, -v[42:43]
	v_add_f64 v[42:43], v[42:43], v[44:45]
	v_add_f64 v[40:41], v[46:47], -v[40:41]
	v_add_f64 v[77:78], v[52:53], -v[64:65]
	;; [unrolled: 1-line block ×3, first 2 shown]
	v_fma_f64 v[86:87], v[68:69], 2.0, -v[73:74]
	v_fma_f64 v[88:89], v[70:71], 2.0, -v[75:76]
	v_add_f64 v[48:49], v[56:57], -v[48:49]
	v_add_f64 v[50:51], v[58:59], -v[50:51]
	v_fma_f64 v[44:45], v[44:45], 2.0, -v[42:43]
	v_fma_f64 v[46:47], v[46:47], 2.0, -v[40:41]
	v_fma_f64 v[60:61], v[42:43], s[8:9], v[73:74]
	v_fma_f64 v[92:93], v[40:41], s[8:9], v[75:76]
	v_fma_f64 v[90:91], v[52:53], 2.0, -v[77:78]
	v_fma_f64 v[54:55], v[54:55], 2.0, -v[79:80]
	;; [unrolled: 1-line block ×4, first 2 shown]
	v_fma_f64 v[62:63], v[44:45], s[2:3], v[86:87]
	v_fma_f64 v[70:71], v[46:47], s[2:3], v[88:89]
	v_add_f64 v[64:65], v[77:78], v[50:51]
	v_add_f64 v[66:67], v[79:80], -v[48:49]
	v_fma_f64 v[68:69], v[40:41], s[8:9], v[60:61]
	v_add_f64 v[56:57], v[90:91], -v[52:53]
	v_add_f64 v[58:59], v[54:55], -v[58:59]
	v_fma_f64 v[60:61], v[46:47], s[8:9], v[62:63]
	v_fma_f64 v[62:63], v[44:45], s[2:3], v[70:71]
	;; [unrolled: 1-line block ×3, first 2 shown]
	v_fma_f64 v[48:49], v[77:78], 2.0, -v[64:65]
	v_fma_f64 v[50:51], v[79:80], 2.0, -v[66:67]
	;; [unrolled: 1-line block ×8, first 2 shown]
	s_and_saveexec_b32 s1, vcc_lo
	s_cbranch_execz .LBB0_17
; %bb.16:
	v_mov_b32_e32 v73, 4
	v_lshlrev_b32_sdwa v73, v73, v84 dst_sel:DWORD dst_unused:UNUSED_PAD src0_sel:DWORD src1_sel:WORD_0
	ds_write_b128 v73, v[40:43]
	ds_write_b128 v73, v[44:47] offset:16
	ds_write_b128 v73, v[48:51] offset:32
	;; [unrolled: 1-line block ×7, first 2 shown]
.LBB0_17:
	s_or_b32 exec_lo, exec_lo, s1
	s_waitcnt lgkmcnt(0)
	s_barrier
	buffer_gl0_inv
	s_and_saveexec_b32 s1, s0
	s_cbranch_execz .LBB0_19
; %bb.18:
	ds_read_b128 v[40:43], v81
	ds_read_b128 v[44:47], v81 offset:640
	ds_read_b128 v[48:51], v81 offset:1280
	ds_read_b128 v[52:55], v81 offset:1920
	ds_read_b128 v[56:59], v81 offset:2560
	ds_read_b128 v[60:63], v81 offset:3200
	ds_read_b128 v[64:67], v81 offset:3840
.LBB0_19:
	s_or_b32 exec_lo, exec_lo, s1
	s_waitcnt lgkmcnt(0)
	s_barrier
	buffer_gl0_inv
	s_and_saveexec_b32 s1, s0
	s_cbranch_execz .LBB0_21
; %bb.20:
	v_mul_f64 v[68:69], v[22:23], v[64:65]
	v_mul_f64 v[70:71], v[6:7], v[44:45]
	;; [unrolled: 1-line block ×12, first 2 shown]
	s_mov_b32 s2, 0xe976ee23
	s_mov_b32 s3, 0x3fe11646
	;; [unrolled: 1-line block ×10, first 2 shown]
	v_fma_f64 v[66:67], v[20:21], v[66:67], -v[68:69]
	v_fma_f64 v[46:47], v[4:5], v[46:47], -v[70:71]
	;; [unrolled: 1-line block ×4, first 2 shown]
	v_fma_f64 v[4:5], v[4:5], v[44:45], v[6:7]
	v_fma_f64 v[6:7], v[20:21], v[64:65], v[22:23]
	;; [unrolled: 1-line block ×6, first 2 shown]
	v_fma_f64 v[12:13], v[12:13], v[54:55], -v[14:15]
	v_fma_f64 v[8:9], v[8:9], v[58:59], -v[10:11]
	v_add_f64 v[10:11], v[66:67], v[46:47]
	v_add_f64 v[14:15], v[50:51], v[62:63]
	;; [unrolled: 1-line block ×3, first 2 shown]
	v_add_f64 v[4:5], v[4:5], -v[6:7]
	v_add_f64 v[22:23], v[0:1], v[2:3]
	v_add_f64 v[0:1], v[0:1], -v[2:3]
	v_add_f64 v[44:45], v[16:17], -v[18:19]
	v_add_f64 v[16:17], v[16:17], v[18:19]
	v_add_f64 v[2:3], v[8:9], v[12:13]
	v_add_f64 v[8:9], v[8:9], -v[12:13]
	v_add_f64 v[12:13], v[50:51], -v[62:63]
	;; [unrolled: 1-line block ×3, first 2 shown]
	v_add_f64 v[6:7], v[14:15], v[10:11]
	v_add_f64 v[46:47], v[22:23], v[20:21]
	v_add_f64 v[56:57], v[0:1], -v[4:5]
	v_add_f64 v[48:49], v[44:45], -v[0:1]
	;; [unrolled: 1-line block ×10, first 2 shown]
	v_add_f64 v[44:45], v[0:1], v[44:45]
	v_add_f64 v[64:65], v[18:19], -v[8:9]
	v_add_f64 v[8:9], v[12:13], v[8:9]
	v_add_f64 v[6:7], v[2:3], v[6:7]
	;; [unrolled: 1-line block ×3, first 2 shown]
	v_add_f64 v[16:17], v[16:17], -v[22:23]
	v_mul_f64 v[48:49], v[48:49], s[2:3]
	v_mul_f64 v[20:21], v[54:55], s[8:9]
	;; [unrolled: 1-line block ×5, first 2 shown]
	s_mov_b32 s2, 0x36b3c0b5
	s_mov_b32 s3, 0x3fac98ee
	;; [unrolled: 1-line block ×3, first 2 shown]
	v_mul_f64 v[12:13], v[58:59], s[2:3]
	s_mov_b32 s8, 0xb247c609
	v_add_f64 v[4:5], v[44:45], v[4:5]
	v_add_f64 v[8:9], v[8:9], v[18:19]
	v_add_f64 v[2:3], v[42:43], v[6:7]
	v_mul_f64 v[42:43], v[60:61], s[10:11]
	v_add_f64 v[0:1], v[40:41], v[46:47]
	v_mul_f64 v[40:41], v[16:17], s[2:3]
	v_fma_f64 v[44:45], v[62:63], s[8:9], v[48:49]
	v_fma_f64 v[66:67], v[14:15], s[18:19], -v[20:21]
	v_fma_f64 v[54:55], v[58:59], s[2:3], v[50:51]
	v_fma_f64 v[50:51], v[10:11], s[18:19], -v[50:51]
	s_mov_b32 s19, 0x3fe77f67
	v_fma_f64 v[58:59], v[64:65], s[8:9], v[52:53]
	s_mov_b32 s9, 0x3fd5d0dc
	v_fma_f64 v[48:49], v[56:57], s[10:11], -v[48:49]
	v_fma_f64 v[10:11], v[10:11], s[18:19], -v[12:13]
	v_fma_f64 v[12:13], v[16:17], s[2:3], v[20:21]
	v_fma_f64 v[22:23], v[62:63], s[8:9], -v[22:23]
	v_fma_f64 v[16:17], v[60:61], s[10:11], -v[52:53]
	s_mov_b32 s2, 0x37c3f68c
	s_mov_b32 s3, 0xbfdc38aa
	v_fma_f64 v[6:7], v[6:7], s[16:17], v[2:3]
	v_fma_f64 v[18:19], v[64:65], s[8:9], -v[42:43]
	v_fma_f64 v[20:21], v[46:47], s[16:17], v[0:1]
	v_fma_f64 v[14:15], v[14:15], s[18:19], -v[40:41]
	v_fma_f64 v[40:41], v[4:5], s[2:3], v[44:45]
	v_fma_f64 v[42:43], v[4:5], s[2:3], v[48:49]
	;; [unrolled: 1-line block ×4, first 2 shown]
	v_add_f64 v[44:45], v[54:55], v[6:7]
	v_add_f64 v[46:47], v[10:11], v[6:7]
	;; [unrolled: 1-line block ×3, first 2 shown]
	v_fma_f64 v[50:51], v[8:9], s[2:3], v[16:17]
	v_add_f64 v[52:53], v[12:13], v[20:21]
	v_fma_f64 v[8:9], v[8:9], s[2:3], v[18:19]
	v_add_f64 v[54:55], v[66:67], v[20:21]
	v_add_f64 v[12:13], v[14:15], v[20:21]
	;; [unrolled: 1-line block ×3, first 2 shown]
	v_add_f64 v[14:15], v[46:47], -v[42:43]
	v_add_f64 v[18:19], v[42:43], v[46:47]
	v_add_f64 v[42:43], v[44:45], -v[40:41]
	v_add_f64 v[40:41], v[48:49], v[52:53]
	v_add_f64 v[10:11], v[4:5], v[22:23]
	v_add_f64 v[22:23], v[22:23], -v[4:5]
	v_add_f64 v[20:21], v[8:9], v[54:55]
	v_add_f64 v[16:17], v[12:13], -v[50:51]
	;; [unrolled: 2-line block ×3, first 2 shown]
	v_add_f64 v[4:5], v[52:53], -v[48:49]
	v_mul_u32_u24_e32 v44, 56, v85
	v_or_b32_e32 v44, v44, v83
	v_lshlrev_b32_e32 v44, 4, v44
	ds_write_b128 v44, v[0:3]
	ds_write_b128 v44, v[40:43] offset:128
	ds_write_b128 v44, v[20:23] offset:256
	;; [unrolled: 1-line block ×6, first 2 shown]
.LBB0_21:
	s_or_b32 exec_lo, exec_lo, s1
	s_waitcnt lgkmcnt(0)
	s_barrier
	buffer_gl0_inv
	ds_read_b128 v[0:3], v81 offset:896
	ds_read_b128 v[4:7], v81 offset:1792
	;; [unrolled: 1-line block ×4, first 2 shown]
	s_mov_b32 s0, 0x134454ff
	s_mov_b32 s1, 0xbfee6f0e
	;; [unrolled: 1-line block ×4, first 2 shown]
	s_waitcnt lgkmcnt(3)
	v_mul_f64 v[16:17], v[38:39], v[2:3]
	s_waitcnt lgkmcnt(2)
	v_mul_f64 v[18:19], v[34:35], v[6:7]
	;; [unrolled: 2-line block ×3, first 2 shown]
	v_mul_f64 v[22:23], v[38:39], v[0:1]
	s_waitcnt lgkmcnt(0)
	v_mul_f64 v[38:39], v[26:27], v[14:15]
	v_mul_f64 v[34:35], v[34:35], v[4:5]
	;; [unrolled: 1-line block ×4, first 2 shown]
	v_fma_f64 v[16:17], v[36:37], v[0:1], v[16:17]
	v_fma_f64 v[4:5], v[32:33], v[4:5], v[18:19]
	v_fma_f64 v[8:9], v[28:29], v[8:9], v[20:21]
	v_fma_f64 v[18:19], v[36:37], v[2:3], -v[22:23]
	v_fma_f64 v[12:13], v[24:25], v[12:13], v[38:39]
	v_fma_f64 v[6:7], v[32:33], v[6:7], -v[34:35]
	v_fma_f64 v[10:11], v[28:29], v[10:11], -v[30:31]
	;; [unrolled: 1-line block ×3, first 2 shown]
	ds_read_b128 v[0:3], v81
	v_add_f64 v[20:21], v[4:5], v[8:9]
	v_add_f64 v[22:23], v[16:17], v[12:13]
	v_add_f64 v[36:37], v[16:17], -v[12:13]
	v_add_f64 v[24:25], v[6:7], v[10:11]
	v_add_f64 v[26:27], v[18:19], v[14:15]
	s_waitcnt lgkmcnt(0)
	v_add_f64 v[28:29], v[0:1], v[16:17]
	v_add_f64 v[34:35], v[2:3], v[18:19]
	v_add_f64 v[30:31], v[18:19], -v[14:15]
	v_add_f64 v[32:33], v[6:7], -v[10:11]
	;; [unrolled: 1-line block ×8, first 2 shown]
	v_fma_f64 v[20:21], v[20:21], -0.5, v[0:1]
	v_fma_f64 v[0:1], v[22:23], -0.5, v[0:1]
	v_add_f64 v[22:23], v[4:5], -v[8:9]
	v_fma_f64 v[24:25], v[24:25], -0.5, v[2:3]
	v_fma_f64 v[2:3], v[26:27], -0.5, v[2:3]
	v_add_f64 v[26:27], v[16:17], -v[4:5]
	v_add_f64 v[16:17], v[4:5], -v[16:17]
	v_add_f64 v[4:5], v[28:29], v[4:5]
	v_add_f64 v[6:7], v[34:35], v[6:7]
	;; [unrolled: 1-line block ×3, first 2 shown]
	v_fma_f64 v[28:29], v[30:31], s[0:1], v[20:21]
	v_fma_f64 v[20:21], v[30:31], s[2:3], v[20:21]
	;; [unrolled: 1-line block ×8, first 2 shown]
	s_mov_b32 s0, 0x4755a5e
	s_mov_b32 s1, 0xbfe2cf23
	;; [unrolled: 1-line block ×4, first 2 shown]
	v_add_f64 v[4:5], v[4:5], v[8:9]
	v_add_f64 v[6:7], v[6:7], v[10:11]
	;; [unrolled: 1-line block ×5, first 2 shown]
	v_fma_f64 v[8:9], v[32:33], s[0:1], v[28:29]
	v_fma_f64 v[10:11], v[32:33], s[2:3], v[20:21]
	;; [unrolled: 1-line block ×8, first 2 shown]
	s_mov_b32 s0, 0x372fe950
	s_mov_b32 s1, 0x3fd3c6ef
	v_add_f64 v[0:1], v[4:5], v[12:13]
	v_add_f64 v[2:3], v[6:7], v[14:15]
	v_fma_f64 v[4:5], v[26:27], s[0:1], v[8:9]
	v_fma_f64 v[8:9], v[26:27], s[0:1], v[10:11]
	v_fma_f64 v[12:13], v[16:17], s[0:1], v[20:21]
	v_fma_f64 v[16:17], v[16:17], s[0:1], v[28:29]
	v_fma_f64 v[6:7], v[38:39], s[0:1], v[30:31]
	v_fma_f64 v[14:15], v[18:19], s[0:1], v[32:33]
	v_fma_f64 v[18:19], v[18:19], s[0:1], v[34:35]
	v_fma_f64 v[10:11], v[38:39], s[0:1], v[22:23]
	ds_write_b128 v81, v[0:3]
	ds_write_b128 v81, v[4:7] offset:896
	ds_write_b128 v81, v[12:15] offset:1792
	;; [unrolled: 1-line block ×4, first 2 shown]
	s_waitcnt lgkmcnt(0)
	s_barrier
	buffer_gl0_inv
	s_and_b32 exec_lo, exec_lo, vcc_lo
	s_cbranch_execz .LBB0_23
; %bb.22:
	v_add_co_u32 v8, s0, s14, v81
	v_add_co_ci_u32_e64 v9, null, s15, 0, s0
	s_clause 0x1
	global_load_dwordx4 v[0:3], v81, s[14:15]
	global_load_dwordx4 v[4:7], v81, s[14:15] offset:560
	v_add_co_u32 v28, vcc_lo, 0x800, v8
	v_add_co_ci_u32_e32 v29, vcc_lo, 0, v9, vcc_lo
	v_mad_u64_u32 v[40:41], null, s6, v72, 0
	s_clause 0x5
	global_load_dwordx4 v[8:11], v81, s[14:15] offset:1120
	global_load_dwordx4 v[12:15], v81, s[14:15] offset:1680
	global_load_dwordx4 v[16:19], v[28:29], off offset:192
	global_load_dwordx4 v[20:23], v[28:29], off offset:752
	;; [unrolled: 1-line block ×4, first 2 shown]
	v_mad_u64_u32 v[56:57], null, s4, v82, 0
	s_mul_i32 s0, s5, 0x230
	s_mul_hi_u32 s1, s4, 0x230
	s_mul_i32 s2, s4, 0x230
	v_mov_b32_e32 v32, v41
	s_add_i32 s3, s1, s0
	s_mov_b32 s0, 0x1d41d41d
	v_mov_b32_e32 v33, v57
	s_mov_b32 s1, 0x3f6d41d4
	v_mad_u64_u32 v[41:42], null, s7, v72, v[32:33]
	v_mad_u64_u32 v[42:43], null, s5, v82, v[33:34]
	ds_read_b128 v[32:35], v81
	ds_read_b128 v[36:39], v81 offset:560
	v_lshlrev_b64 v[58:59], 4, v[40:41]
	v_mov_b32_e32 v57, v42
	ds_read_b128 v[40:43], v81 offset:1120
	ds_read_b128 v[44:47], v81 offset:1680
	;; [unrolled: 1-line block ×4, first 2 shown]
	v_add_co_u32 v66, vcc_lo, s12, v58
	v_lshlrev_b64 v[64:65], 4, v[56:57]
	v_add_co_ci_u32_e32 v67, vcc_lo, s13, v59, vcc_lo
	ds_read_b128 v[56:59], v81 offset:3360
	ds_read_b128 v[60:63], v81 offset:3920
	v_add_co_u32 v64, vcc_lo, v66, v64
	v_add_co_ci_u32_e32 v65, vcc_lo, v67, v65, vcc_lo
	v_add_co_u32 v66, vcc_lo, v64, s2
	v_add_co_ci_u32_e32 v67, vcc_lo, s3, v65, vcc_lo
	;; [unrolled: 2-line block ×4, first 2 shown]
	s_waitcnt vmcnt(7) lgkmcnt(7)
	v_mul_f64 v[68:69], v[34:35], v[2:3]
	v_mul_f64 v[2:3], v[32:33], v[2:3]
	s_waitcnt vmcnt(6) lgkmcnt(6)
	v_mul_f64 v[70:71], v[38:39], v[6:7]
	v_mul_f64 v[6:7], v[36:37], v[6:7]
	;; [unrolled: 3-line block ×8, first 2 shown]
	v_fma_f64 v[32:33], v[32:33], v[0:1], v[68:69]
	v_fma_f64 v[2:3], v[0:1], v[34:35], -v[2:3]
	v_fma_f64 v[34:35], v[36:37], v[4:5], v[70:71]
	v_fma_f64 v[6:7], v[4:5], v[38:39], -v[6:7]
	;; [unrolled: 2-line block ×8, first 2 shown]
	v_add_co_u32 v48, vcc_lo, v86, s2
	v_add_co_ci_u32_e32 v49, vcc_lo, s3, v87, vcc_lo
	v_mul_f64 v[0:1], v[32:33], s[0:1]
	v_mul_f64 v[2:3], v[2:3], s[0:1]
	;; [unrolled: 1-line block ×16, first 2 shown]
	v_add_co_u32 v32, vcc_lo, v48, s2
	v_add_co_ci_u32_e32 v33, vcc_lo, s3, v49, vcc_lo
	v_add_co_u32 v34, vcc_lo, v32, s2
	v_add_co_ci_u32_e32 v35, vcc_lo, s3, v33, vcc_lo
	;; [unrolled: 2-line block ×3, first 2 shown]
	global_store_dwordx4 v[64:65], v[0:3], off
	global_store_dwordx4 v[66:67], v[4:7], off
	;; [unrolled: 1-line block ×8, first 2 shown]
.LBB0_23:
	s_endpgm
	.section	.rodata,"a",@progbits
	.p2align	6, 0x0
	.amdhsa_kernel bluestein_single_back_len280_dim1_dp_op_CI_CI
		.amdhsa_group_segment_fixed_size 4480
		.amdhsa_private_segment_fixed_size 0
		.amdhsa_kernarg_size 104
		.amdhsa_user_sgpr_count 6
		.amdhsa_user_sgpr_private_segment_buffer 1
		.amdhsa_user_sgpr_dispatch_ptr 0
		.amdhsa_user_sgpr_queue_ptr 0
		.amdhsa_user_sgpr_kernarg_segment_ptr 1
		.amdhsa_user_sgpr_dispatch_id 0
		.amdhsa_user_sgpr_flat_scratch_init 0
		.amdhsa_user_sgpr_private_segment_size 0
		.amdhsa_wavefront_size32 1
		.amdhsa_uses_dynamic_stack 0
		.amdhsa_system_sgpr_private_segment_wavefront_offset 0
		.amdhsa_system_sgpr_workgroup_id_x 1
		.amdhsa_system_sgpr_workgroup_id_y 0
		.amdhsa_system_sgpr_workgroup_id_z 0
		.amdhsa_system_sgpr_workgroup_info 0
		.amdhsa_system_vgpr_workitem_id 0
		.amdhsa_next_free_vgpr 160
		.amdhsa_next_free_sgpr 20
		.amdhsa_reserve_vcc 1
		.amdhsa_reserve_flat_scratch 0
		.amdhsa_float_round_mode_32 0
		.amdhsa_float_round_mode_16_64 0
		.amdhsa_float_denorm_mode_32 3
		.amdhsa_float_denorm_mode_16_64 3
		.amdhsa_dx10_clamp 1
		.amdhsa_ieee_mode 1
		.amdhsa_fp16_overflow 0
		.amdhsa_workgroup_processor_mode 1
		.amdhsa_memory_ordered 1
		.amdhsa_forward_progress 0
		.amdhsa_shared_vgpr_count 0
		.amdhsa_exception_fp_ieee_invalid_op 0
		.amdhsa_exception_fp_denorm_src 0
		.amdhsa_exception_fp_ieee_div_zero 0
		.amdhsa_exception_fp_ieee_overflow 0
		.amdhsa_exception_fp_ieee_underflow 0
		.amdhsa_exception_fp_ieee_inexact 0
		.amdhsa_exception_int_div_zero 0
	.end_amdhsa_kernel
	.text
.Lfunc_end0:
	.size	bluestein_single_back_len280_dim1_dp_op_CI_CI, .Lfunc_end0-bluestein_single_back_len280_dim1_dp_op_CI_CI
                                        ; -- End function
	.section	.AMDGPU.csdata,"",@progbits
; Kernel info:
; codeLenInByte = 7724
; NumSgprs: 22
; NumVgprs: 160
; ScratchSize: 0
; MemoryBound: 0
; FloatMode: 240
; IeeeMode: 1
; LDSByteSize: 4480 bytes/workgroup (compile time only)
; SGPRBlocks: 2
; VGPRBlocks: 19
; NumSGPRsForWavesPerEU: 22
; NumVGPRsForWavesPerEU: 160
; Occupancy: 6
; WaveLimiterHint : 1
; COMPUTE_PGM_RSRC2:SCRATCH_EN: 0
; COMPUTE_PGM_RSRC2:USER_SGPR: 6
; COMPUTE_PGM_RSRC2:TRAP_HANDLER: 0
; COMPUTE_PGM_RSRC2:TGID_X_EN: 1
; COMPUTE_PGM_RSRC2:TGID_Y_EN: 0
; COMPUTE_PGM_RSRC2:TGID_Z_EN: 0
; COMPUTE_PGM_RSRC2:TIDIG_COMP_CNT: 0
	.text
	.p2alignl 6, 3214868480
	.fill 48, 4, 3214868480
	.type	__hip_cuid_dea8e1c0c910b9fc,@object ; @__hip_cuid_dea8e1c0c910b9fc
	.section	.bss,"aw",@nobits
	.globl	__hip_cuid_dea8e1c0c910b9fc
__hip_cuid_dea8e1c0c910b9fc:
	.byte	0                               ; 0x0
	.size	__hip_cuid_dea8e1c0c910b9fc, 1

	.ident	"AMD clang version 19.0.0git (https://github.com/RadeonOpenCompute/llvm-project roc-6.4.0 25133 c7fe45cf4b819c5991fe208aaa96edf142730f1d)"
	.section	".note.GNU-stack","",@progbits
	.addrsig
	.addrsig_sym __hip_cuid_dea8e1c0c910b9fc
	.amdgpu_metadata
---
amdhsa.kernels:
  - .args:
      - .actual_access:  read_only
        .address_space:  global
        .offset:         0
        .size:           8
        .value_kind:     global_buffer
      - .actual_access:  read_only
        .address_space:  global
        .offset:         8
        .size:           8
        .value_kind:     global_buffer
      - .actual_access:  read_only
        .address_space:  global
        .offset:         16
        .size:           8
        .value_kind:     global_buffer
      - .actual_access:  read_only
        .address_space:  global
        .offset:         24
        .size:           8
        .value_kind:     global_buffer
      - .actual_access:  read_only
        .address_space:  global
        .offset:         32
        .size:           8
        .value_kind:     global_buffer
      - .offset:         40
        .size:           8
        .value_kind:     by_value
      - .address_space:  global
        .offset:         48
        .size:           8
        .value_kind:     global_buffer
      - .address_space:  global
        .offset:         56
        .size:           8
        .value_kind:     global_buffer
      - .address_space:  global
        .offset:         64
        .size:           8
        .value_kind:     global_buffer
      - .address_space:  global
        .offset:         72
        .size:           8
        .value_kind:     global_buffer
      - .offset:         80
        .size:           4
        .value_kind:     by_value
      - .address_space:  global
        .offset:         88
        .size:           8
        .value_kind:     global_buffer
      - .address_space:  global
        .offset:         96
        .size:           8
        .value_kind:     global_buffer
    .group_segment_fixed_size: 4480
    .kernarg_segment_align: 8
    .kernarg_segment_size: 104
    .language:       OpenCL C
    .language_version:
      - 2
      - 0
    .max_flat_workgroup_size: 56
    .name:           bluestein_single_back_len280_dim1_dp_op_CI_CI
    .private_segment_fixed_size: 0
    .sgpr_count:     22
    .sgpr_spill_count: 0
    .symbol:         bluestein_single_back_len280_dim1_dp_op_CI_CI.kd
    .uniform_work_group_size: 1
    .uses_dynamic_stack: false
    .vgpr_count:     160
    .vgpr_spill_count: 0
    .wavefront_size: 32
    .workgroup_processor_mode: 1
amdhsa.target:   amdgcn-amd-amdhsa--gfx1030
amdhsa.version:
  - 1
  - 2
...

	.end_amdgpu_metadata
